;; amdgpu-corpus repo=ROCm/rocFFT kind=compiled arch=gfx1201 opt=O3
	.text
	.amdgcn_target "amdgcn-amd-amdhsa--gfx1201"
	.amdhsa_code_object_version 6
	.protected	fft_rtc_back_len192_factors_6_4_4_2_wgs_256_tpt_32_sp_op_CI_CI_sbrc_erc_z_xy_unaligned_dirReg ; -- Begin function fft_rtc_back_len192_factors_6_4_4_2_wgs_256_tpt_32_sp_op_CI_CI_sbrc_erc_z_xy_unaligned_dirReg
	.globl	fft_rtc_back_len192_factors_6_4_4_2_wgs_256_tpt_32_sp_op_CI_CI_sbrc_erc_z_xy_unaligned_dirReg
	.p2align	8
	.type	fft_rtc_back_len192_factors_6_4_4_2_wgs_256_tpt_32_sp_op_CI_CI_sbrc_erc_z_xy_unaligned_dirReg,@function
fft_rtc_back_len192_factors_6_4_4_2_wgs_256_tpt_32_sp_op_CI_CI_sbrc_erc_z_xy_unaligned_dirReg: ; @fft_rtc_back_len192_factors_6_4_4_2_wgs_256_tpt_32_sp_op_CI_CI_sbrc_erc_z_xy_unaligned_dirReg
; %bb.0:
	s_load_b256 s[4:11], s[0:1], 0x8
	s_wait_kmcnt 0x0
	s_load_b128 s[12:15], s[6:7], 0x8
	s_wait_kmcnt 0x0
	s_add_co_i32 s2, s12, -1
	s_delay_alu instid0(SALU_CYCLE_1) | instskip(NEXT) | instid1(SALU_CYCLE_1)
	s_lshr_b32 s2, s2, 3
	s_add_co_i32 s3, s2, 1
	s_delay_alu instid0(SALU_CYCLE_1) | instskip(SKIP_3) | instid1(SALU_CYCLE_2)
	s_mul_i32 s6, s3, s14
	s_cvt_f32_u32 s13, s3
	s_cvt_f32_u32 s7, s6
	s_sub_co_i32 s14, 0, s6
	v_rcp_iflag_f32_e32 v1, s7
	s_delay_alu instid0(TRANS32_DEP_1) | instskip(SKIP_1) | instid1(VALU_DEP_1)
	v_readfirstlane_b32 s7, v1
	v_rcp_iflag_f32_e32 v1, s13
	s_mul_f32 s7, s7, 0x4f7ffffe
	s_wait_alu 0xfffe
	s_delay_alu instid0(SALU_CYCLE_2) | instskip(SKIP_1) | instid1(SALU_CYCLE_2)
	s_cvt_u32_f32 s7, s7
	s_wait_alu 0xfffe
	s_mul_i32 s14, s14, s7
	s_delay_alu instid0(SALU_CYCLE_1) | instskip(NEXT) | instid1(TRANS32_DEP_1)
	s_mul_hi_u32 s13, s7, s14
	v_readfirstlane_b32 s14, v1
	s_wait_alu 0xfffe
	s_add_co_i32 s7, s7, s13
	s_wait_alu 0xfffe
	s_mul_hi_u32 s7, ttmp9, s7
	s_mul_f32 s14, s14, 0x4f7ffffe
	s_wait_alu 0xfffe
	s_mul_i32 s13, s7, s6
	s_add_co_i32 s15, s7, 1
	s_wait_alu 0xfffe
	s_sub_co_i32 s13, ttmp9, s13
	s_wait_alu 0xfffe
	s_sub_co_i32 s16, s13, s6
	s_cmp_ge_u32 s13, s6
	s_cselect_b32 s7, s15, s7
	s_cselect_b32 s13, s16, s13
	s_wait_alu 0xfffe
	s_add_co_i32 s15, s7, 1
	s_cmp_ge_u32 s13, s6
	s_cvt_u32_f32 s13, s14
	s_cselect_b32 s14, s15, s7
	s_not_b32 s2, s2
	s_mul_i32 s6, s14, s6
	s_wait_alu 0xfffe
	s_mul_i32 s2, s2, s13
	s_sub_co_i32 s6, ttmp9, s6
	s_mul_hi_u32 s2, s13, s2
	s_load_b128 s[16:19], s[8:9], 0x0
	s_add_co_i32 s13, s13, s2
	s_wait_alu 0xfffe
	s_mul_hi_u32 s2, s6, s13
	s_mul_hi_u32 s13, ttmp9, s13
	s_mul_i32 s7, s2, s3
	s_wait_alu 0xfffe
	s_mul_i32 s13, s13, s3
	s_sub_co_i32 s6, s6, s7
	s_add_co_i32 s7, s2, 1
	s_wait_alu 0xfffe
	s_sub_co_i32 s15, s6, s3
	s_cmp_ge_u32 s6, s3
	s_cselect_b32 s2, s7, s2
	s_cselect_b32 s6, s15, s6
	s_add_co_i32 s7, s2, 1
	s_wait_alu 0xfffe
	s_cmp_ge_u32 s6, s3
	s_mov_b32 s15, 0
	s_cselect_b32 s28, s7, s2
	s_sub_co_i32 s2, ttmp9, s13
	s_load_b32 s13, s[8:9], 0x10
	s_sub_co_i32 s6, s2, s3
	s_cmp_ge_u32 s2, s3
	s_mov_b32 s21, s15
	s_wait_alu 0xfffe
	s_cselect_b32 s2, s6, s2
	s_delay_alu instid0(SALU_CYCLE_1)
	s_sub_co_i32 s6, s2, s3
	s_cmp_ge_u32 s2, s3
	s_wait_kmcnt 0x0
	s_wait_alu 0xfffe
	s_cselect_b32 s19, s6, s2
	s_lshl_b64 s[4:5], s[4:5], 3
	s_delay_alu instid0(SALU_CYCLE_1)
	s_add_nc_u64 s[2:3], s[8:9], s[4:5]
	s_load_b64 s[6:7], s[2:3], 0x0
	s_load_b64 s[2:3], s[0:1], 0x58
	s_lshl_b32 s8, s19, 3
	s_add_nc_u64 s[26:27], s[10:11], s[4:5]
	s_mul_i32 s19, s8, s18
	s_add_co_i32 s22, s8, 8
	s_mov_b32 s9, -1
	s_mul_i32 s13, s28, s13
	s_wait_alu 0xfffe
	s_add_co_i32 s20, s19, s13
	s_cmp_le_u32 s22, s12
	s_cselect_b32 s13, -1, 0
	s_wait_alu 0xfffe
	s_and_b32 vcc_lo, exec_lo, s13
	s_wait_kmcnt 0x0
	s_mul_u64 s[4:5], s[6:7], s[14:15]
	s_delay_alu instid0(SALU_CYCLE_1)
	s_add_nc_u64 s[24:25], s[4:5], s[20:21]
	s_cbranch_vccz .LBB0_2
; %bb.1:
	v_mul_u32_u24_e32 v1, 0x156, v0
	v_or_b32_e32 v5, 0x100, v0
	v_mov_b32_e32 v2, 0
	v_or_b32_e32 v6, 0x200, v0
	v_or_b32_e32 v12, 0x300, v0
	v_lshrrev_b32_e32 v21, 16, v1
	v_and_b32_e32 v1, 0xffff, v5
	v_or_b32_e32 v14, 0x400, v0
	v_and_b32_e32 v4, 0xffff, v6
	v_and_b32_e32 v7, 0xffff, v12
	v_mul_lo_u16 v3, 0xc0, v21
	v_mul_u32_u24_e32 v1, 0x156, v1
	v_and_b32_e32 v9, 0xffff, v14
	v_or_b32_e32 v15, 0x500, v0
	v_mul_u32_u24_e32 v11, 0x2ab, v7
	v_sub_nc_u16 v3, v0, v3
	v_lshrrev_b32_e32 v22, 16, v1
	v_mul_u32_u24_e32 v1, 0x2ab, v4
	v_mul_u32_u24_e32 v13, 0x2ab, v9
	v_lshrrev_b32_e32 v27, 17, v11
	v_and_b32_e32 v23, 0xffff, v3
	v_mul_lo_u16 v8, 0xc0, v22
	v_lshrrev_b32_e32 v24, 17, v1
	v_lshrrev_b32_e32 v28, 17, v13
	v_mul_lo_u16 v13, 0xc0, v27
	v_mad_co_u64_u32 v[3:4], null, s16, v23, 0
	v_sub_nc_u16 v5, v5, v8
	v_mul_lo_u16 v8, 0xc0, v24
	v_mul_lo_u32 v1, s18, v21
	s_lshl_b64 s[4:5], s[24:25], 3
	s_mov_b32 s9, s15
	v_and_b32_e32 v25, 0xffff, v5
	v_sub_nc_u16 v7, v6, v8
	s_add_nc_u64 s[4:5], s[2:3], s[4:5]
	s_delay_alu instid0(VALU_DEP_2) | instskip(NEXT) | instid1(VALU_DEP_2)
	v_mad_co_u64_u32 v[5:6], null, s16, v25, 0
	v_and_b32_e32 v26, 0xffff, v7
	s_delay_alu instid0(VALU_DEP_2) | instskip(NEXT) | instid1(VALU_DEP_2)
	v_mad_co_u64_u32 v[7:8], null, s17, v23, v[4:5]
	v_mad_co_u64_u32 v[8:9], null, s16, v26, 0
	s_delay_alu instid0(VALU_DEP_2) | instskip(SKIP_1) | instid1(VALU_DEP_3)
	v_mov_b32_e32 v4, v7
	v_mad_co_u64_u32 v[6:7], null, s17, v25, v[6:7]
	v_mov_b32_e32 v7, v9
	v_sub_nc_u16 v9, v12, v13
	s_delay_alu instid0(VALU_DEP_4) | instskip(NEXT) | instid1(VALU_DEP_3)
	v_lshlrev_b64_e32 v[3:4], 3, v[3:4]
	v_mad_co_u64_u32 v[12:13], null, s17, v26, v[7:8]
	v_and_b32_e32 v10, 0xffff, v15
	s_delay_alu instid0(VALU_DEP_4) | instskip(NEXT) | instid1(VALU_DEP_4)
	v_and_b32_e32 v29, 0xffff, v9
	v_add_co_u32 v7, vcc_lo, s4, v3
	v_add_co_ci_u32_e32 v13, vcc_lo, s5, v4, vcc_lo
	v_mov_b32_e32 v9, v12
	v_mul_u32_u24_e32 v16, 0x2ab, v10
	v_lshlrev_b64_e32 v[10:11], 3, v[1:2]
	v_mul_lo_u32 v1, s18, v22
	v_lshlrev_b64_e32 v[3:4], 3, v[5:6]
	s_delay_alu instid0(VALU_DEP_4) | instskip(NEXT) | instid1(VALU_DEP_4)
	v_lshrrev_b32_e32 v30, 17, v16
	v_add_co_u32 v5, vcc_lo, v7, v10
	s_wait_alu 0xfffd
	v_add_co_ci_u32_e32 v6, vcc_lo, v13, v11, vcc_lo
	s_delay_alu instid0(VALU_DEP_4)
	v_add_co_u32 v7, vcc_lo, s4, v3
	s_wait_alu 0xfffd
	v_add_co_ci_u32_e32 v13, vcc_lo, s5, v4, vcc_lo
	v_lshlrev_b64_e32 v[3:4], 3, v[1:2]
	v_mul_lo_u16 v1, 0xc0, v28
	v_mad_co_u64_u32 v[10:11], null, s16, v29, 0
	s_delay_alu instid0(VALU_DEP_2) | instskip(SKIP_4) | instid1(VALU_DEP_3)
	v_sub_nc_u16 v12, v14, v1
	v_mul_lo_u16 v1, 0xc0, v30
	v_add_co_u32 v3, vcc_lo, v7, v3
	s_wait_alu 0xfffd
	v_add_co_ci_u32_e32 v4, vcc_lo, v13, v4, vcc_lo
	v_sub_nc_u16 v13, v15, v1
	v_and_b32_e32 v31, 0xffff, v12
	v_mul_lo_u32 v1, s18, v24
	v_lshlrev_b64_e32 v[7:8], 3, v[8:9]
	s_delay_alu instid0(VALU_DEP_4) | instskip(NEXT) | instid1(VALU_DEP_4)
	v_dual_mov_b32 v9, v11 :: v_dual_and_b32 v32, 0xffff, v13
	v_mad_co_u64_u32 v[12:13], null, s16, v31, 0
	s_delay_alu instid0(VALU_DEP_2) | instskip(NEXT) | instid1(VALU_DEP_4)
	v_mad_co_u64_u32 v[14:15], null, s17, v29, v[9:10]
	v_add_co_u32 v17, vcc_lo, s4, v7
	s_wait_alu 0xfffd
	v_add_co_ci_u32_e32 v18, vcc_lo, s5, v8, vcc_lo
	s_delay_alu instid0(VALU_DEP_4) | instskip(SKIP_4) | instid1(VALU_DEP_3)
	v_mov_b32_e32 v7, v13
	v_mad_co_u64_u32 v[15:16], null, s16, v32, 0
	v_lshlrev_b64_e32 v[8:9], 3, v[1:2]
	v_mov_b32_e32 v11, v14
	v_mul_lo_u32 v1, s18, v27
	v_mad_co_u64_u32 v[13:14], null, s17, v31, v[7:8]
	v_mov_b32_e32 v7, v16
	v_add_co_u32 v8, vcc_lo, v17, v8
	s_wait_alu 0xfffd
	v_add_co_ci_u32_e32 v9, vcc_lo, v18, v9, vcc_lo
	v_lshlrev_b64_e32 v[17:18], 3, v[1:2]
	s_delay_alu instid0(VALU_DEP_3) | instskip(SKIP_3) | instid1(VALU_DEP_4)
	v_mad_co_u64_u32 v[19:20], null, s17, v32, v[7:8]
	v_lshlrev_b32_e32 v20, 3, v26
	v_lshlrev_b64_e32 v[10:11], 3, v[10:11]
	v_mul_lo_u32 v1, s18, v28
	v_mov_b32_e32 v16, v19
	s_delay_alu instid0(VALU_DEP_3) | instskip(SKIP_1) | instid1(VALU_DEP_4)
	v_add_co_u32 v7, vcc_lo, s4, v10
	s_wait_alu 0xfffd
	v_add_co_ci_u32_e32 v14, vcc_lo, s5, v11, vcc_lo
	v_lshlrev_b64_e32 v[10:11], 3, v[12:13]
	s_delay_alu instid0(VALU_DEP_3) | instskip(SKIP_1) | instid1(VALU_DEP_3)
	v_add_co_u32 v12, vcc_lo, v7, v17
	s_wait_alu 0xfffd
	v_add_co_ci_u32_e32 v13, vcc_lo, v14, v18, vcc_lo
	v_lshlrev_b64_e32 v[17:18], 3, v[1:2]
	v_mul_lo_u32 v1, s18, v30
	v_lshlrev_b64_e32 v[14:15], 3, v[15:16]
	v_add_co_u32 v7, vcc_lo, s4, v10
	s_wait_alu 0xfffd
	v_add_co_ci_u32_e32 v11, vcc_lo, s5, v11, vcc_lo
	v_mul_u32_u24_e32 v16, 0x608, v24
	s_delay_alu instid0(VALU_DEP_4)
	v_add_co_u32 v14, vcc_lo, s4, v14
	v_lshlrev_b64_e32 v[1:2], 3, v[1:2]
	s_wait_alu 0xfffd
	v_add_co_ci_u32_e32 v15, vcc_lo, s5, v15, vcc_lo
	v_add_co_u32 v10, vcc_lo, v7, v17
	s_wait_alu 0xfffd
	v_add_co_ci_u32_e32 v11, vcc_lo, v11, v18, vcc_lo
	v_add_co_u32 v1, vcc_lo, v14, v1
	s_wait_alu 0xfffd
	v_add_co_ci_u32_e32 v2, vcc_lo, v15, v2, vcc_lo
	s_clause 0x5
	global_load_b64 v[5:6], v[5:6], off
	global_load_b64 v[3:4], v[3:4], off
	;; [unrolled: 1-line block ×6, first 2 shown]
	v_mul_u32_u24_e32 v11, 0x608, v21
	v_lshlrev_b32_e32 v15, 3, v23
	v_mul_u32_u24_e32 v14, 0x608, v22
	v_lshlrev_b32_e32 v22, 3, v31
	;; [unrolled: 2-line block ×3, first 2 shown]
	v_add3_u32 v11, 0, v11, v15
	v_lshlrev_b32_e32 v15, 3, v25
	v_mul_u32_u24_e32 v18, 0x608, v28
	v_mul_u32_u24_e32 v19, 0x608, v30
	v_lshlrev_b32_e32 v23, 3, v32
	s_delay_alu instid0(VALU_DEP_4)
	v_add3_u32 v14, 0, v14, v15
	v_add3_u32 v15, 0, v16, v20
	;; [unrolled: 1-line block ×5, first 2 shown]
	s_wait_loadcnt 0x5
	ds_store_b64 v11, v[5:6]
	s_wait_loadcnt 0x4
	ds_store_b64 v14, v[3:4]
	;; [unrolled: 2-line block ×6, first 2 shown]
.LBB0_2:
	s_load_b64 s[20:21], s[10:11], 0x10
	s_load_b64 s[22:23], s[0:1], 0x0
	s_clause 0x1
	s_load_b128 s[4:7], s[10:11], 0x0
	s_load_b64 s[10:11], s[26:27], 0x0
	s_and_not1_b32 vcc_lo, exec_lo, s9
	s_wait_alu 0xfffe
	s_cbranch_vccnz .LBB0_6
; %bb.3:
	v_dual_mov_b32 v2, 0 :: v_dual_mov_b32 v3, v0
	s_lshl_b64 s[24:25], s[24:25], 3
	s_wait_kmcnt 0x0
	s_mov_b32 s7, 0
	s_add_nc_u64 s[2:3], s[2:3], s[24:25]
.LBB0_4:                                ; =>This Inner Loop Header: Depth=1
	v_and_b32_e32 v1, 0xffff, v3
	s_delay_alu instid0(VALU_DEP_1) | instskip(NEXT) | instid1(VALU_DEP_1)
	v_mul_u32_u24_e32 v1, 0xaaab, v1
	v_lshrrev_b32_e32 v8, 23, v1
	s_delay_alu instid0(VALU_DEP_1) | instskip(NEXT) | instid1(VALU_DEP_1)
	v_mul_lo_u16 v1, 0xc0, v8
	v_sub_nc_u16 v1, v3, v1
	v_add_nc_u32_e32 v3, 0x100, v3
	s_delay_alu instid0(VALU_DEP_2) | instskip(NEXT) | instid1(VALU_DEP_1)
	v_and_b32_e32 v9, 0xffff, v1
	v_mad_co_u64_u32 v[4:5], null, s16, v9, 0
	s_delay_alu instid0(VALU_DEP_1) | instskip(NEXT) | instid1(VALU_DEP_1)
	v_mov_b32_e32 v1, v5
	v_mad_co_u64_u32 v[5:6], null, s17, v9, v[1:2]
	v_mul_lo_u32 v1, v8, s18
	s_delay_alu instid0(VALU_DEP_2) | instskip(NEXT) | instid1(VALU_DEP_2)
	v_lshlrev_b64_e32 v[4:5], 3, v[4:5]
	v_lshlrev_b64_e32 v[6:7], 3, v[1:2]
	s_delay_alu instid0(VALU_DEP_2) | instskip(SKIP_1) | instid1(VALU_DEP_3)
	v_add_co_u32 v1, vcc_lo, s2, v4
	s_wait_alu 0xfffd
	v_add_co_ci_u32_e32 v5, vcc_lo, s3, v5, vcc_lo
	s_delay_alu instid0(VALU_DEP_2) | instskip(SKIP_2) | instid1(VALU_DEP_3)
	v_add_co_u32 v4, vcc_lo, v1, v6
	v_lshlrev_b32_e32 v6, 3, v9
	s_wait_alu 0xfffd
	v_add_co_ci_u32_e32 v5, vcc_lo, v5, v7, vcc_lo
	v_mul_u32_u24_e32 v1, 0x608, v8
	v_cmp_lt_u32_e32 vcc_lo, 0x5ff, v3
	global_load_b64 v[4:5], v[4:5], off
	v_add3_u32 v1, 0, v1, v6
	s_wait_alu 0xfffe
	s_or_b32 s7, vcc_lo, s7
	s_wait_loadcnt 0x0
	ds_store_b64 v1, v[4:5]
	s_wait_alu 0xfffe
	s_and_not1_b32 exec_lo, exec_lo, s7
	s_cbranch_execnz .LBB0_4
; %bb.5:
	s_or_b32 exec_lo, exec_lo, s7
.LBB0_6:
	v_lshrrev_b32_e32 v1, 5, v0
	v_and_b32_e32 v23, 31, v0
	global_wb scope:SCOPE_SE
	s_wait_dscnt 0x0
	s_wait_kmcnt 0x0
	s_barrier_signal -1
	s_barrier_wait -1
	v_mul_u32_u24_e32 v18, 0xc1, v1
	v_lshlrev_b32_e32 v20, 3, v23
	global_inv scope:SCOPE_SE
	v_lshlrev_b32_e32 v22, 3, v18
	v_add_nc_u32_e32 v19, 0, v20
	s_delay_alu instid0(VALU_DEP_2) | instskip(NEXT) | instid1(VALU_DEP_2)
	v_add3_u32 v21, 0, v22, v20
	v_add_nc_u32_e32 v17, v19, v22
	ds_load_2addr_b64 v[1:4], v17 offset0:32 offset1:64
	ds_load_b64 v[9:10], v21
	ds_load_2addr_b64 v[5:8], v17 offset0:96 offset1:128
	ds_load_b64 v[11:12], v17 offset:1280
	global_wb scope:SCOPE_SE
	s_wait_dscnt 0x0
	s_barrier_signal -1
	s_barrier_wait -1
	global_inv scope:SCOPE_SE
	v_add_f32_e32 v24, v10, v4
	v_add_f32_e32 v14, v3, v7
	v_sub_f32_e32 v16, v4, v8
	v_dual_add_f32 v4, v4, v8 :: v_dual_add_f32 v25, v1, v5
	v_add_f32_e32 v26, v5, v11
	v_sub_f32_e32 v5, v5, v11
	v_add_f32_e32 v13, v9, v3
	v_sub_f32_e32 v3, v3, v7
	v_sub_f32_e32 v27, v6, v12
	v_add_f32_e32 v28, v2, v6
	v_fma_f32 v9, -0.5, v14, v9
	v_dual_add_f32 v7, v13, v7 :: v_dual_fmac_f32 v10, -0.5, v4
	v_add_f32_e32 v4, v25, v11
	v_fma_f32 v1, -0.5, v26, v1
	v_add_f32_e32 v6, v6, v12
	v_add_f32_e32 v8, v24, v8
	;; [unrolled: 1-line block ×3, first 2 shown]
	v_fmamk_f32 v24, v16, 0xbf5db3d7, v9
	v_dual_fmac_f32 v9, 0x3f5db3d7, v16 :: v_dual_fmamk_f32 v16, v3, 0x3f5db3d7, v10
	v_dual_fmac_f32 v10, 0xbf5db3d7, v3 :: v_dual_fmamk_f32 v3, v27, 0xbf5db3d7, v1
	v_fma_f32 v2, -0.5, v6, v2
	v_fmac_f32_e32 v1, 0x3f5db3d7, v27
	v_add_f32_e32 v6, v8, v11
	v_mad_u32_u24 v15, v23, 40, v17
	v_cmp_gt_u32_e32 vcc_lo, 16, v23
	v_fmamk_f32 v12, v5, 0x3f5db3d7, v2
	v_dual_fmac_f32 v2, 0xbf5db3d7, v5 :: v_dual_add_f32 v5, v7, v4
	v_dual_sub_f32 v8, v8, v11 :: v_dual_sub_f32 v7, v7, v4
	s_delay_alu instid0(VALU_DEP_3) | instskip(NEXT) | instid1(VALU_DEP_3)
	v_mul_f32_e32 v25, 0xbf5db3d7, v12
	v_dual_mul_f32 v27, 0.5, v12 :: v_dual_mul_f32 v28, -0.5, v2
	s_delay_alu instid0(VALU_DEP_2) | instskip(NEXT) | instid1(VALU_DEP_2)
	v_fmac_f32_e32 v25, 0.5, v3
	v_fmac_f32_e32 v27, 0x3f5db3d7, v3
	s_delay_alu instid0(VALU_DEP_2) | instskip(NEXT) | instid1(VALU_DEP_2)
	v_dual_mul_f32 v26, 0xbf5db3d7, v2 :: v_dual_add_f32 v11, v24, v25
	v_add_f32_e32 v12, v16, v27
	s_delay_alu instid0(VALU_DEP_2) | instskip(SKIP_2) | instid1(VALU_DEP_3)
	v_fmac_f32_e32 v26, -0.5, v1
	v_fmac_f32_e32 v28, 0x3f5db3d7, v1
	v_sub_f32_e32 v1, v24, v25
	v_dual_sub_f32 v2, v16, v27 :: v_dual_add_f32 v13, v9, v26
	s_delay_alu instid0(VALU_DEP_3)
	v_dual_add_f32 v14, v10, v28 :: v_dual_sub_f32 v3, v9, v26
	v_sub_f32_e32 v4, v10, v28
	ds_store_2addr_b64 v15, v[5:6], v[11:12] offset1:1
	ds_store_2addr_b64 v15, v[13:14], v[7:8] offset0:2 offset1:3
	ds_store_2addr_b64 v15, v[1:2], v[3:4] offset0:4 offset1:5
	global_wb scope:SCOPE_SE
	s_wait_dscnt 0x0
	s_barrier_signal -1
	s_barrier_wait -1
	global_inv scope:SCOPE_SE
	ds_load_2addr_b64 v[9:12], v17 offset0:48 offset1:96
	ds_load_b64 v[13:14], v21
	ds_load_b64 v[15:16], v17 offset:1152
                                        ; implicit-def: $vgpr8
	s_and_saveexec_b32 s2, vcc_lo
	s_cbranch_execz .LBB0_8
; %bb.7:
	ds_load_2addr_b64 v[1:4], v17 offset0:32 offset1:80
	ds_load_2addr_b64 v[5:8], v17 offset0:128 offset1:176
.LBB0_8:
	s_wait_alu 0xfffe
	s_or_b32 exec_lo, exec_lo, s2
	v_mul_lo_u16 v24, v23, 43
	s_delay_alu instid0(VALU_DEP_1) | instskip(SKIP_1) | instid1(VALU_DEP_2)
	v_lshrrev_b16 v40, 8, v24
	v_or_b32_e32 v24, 32, v23
	v_mul_lo_u16 v26, v40, 6
	s_delay_alu instid0(VALU_DEP_2) | instskip(SKIP_1) | instid1(VALU_DEP_3)
	v_mul_lo_u16 v25, v24, 43
	v_mul_lo_u16 v40, v40, 24
	v_sub_nc_u16 v41, v23, v26
	s_delay_alu instid0(VALU_DEP_3) | instskip(NEXT) | instid1(VALU_DEP_2)
	v_lshrrev_b16 v26, 8, v25
	v_mul_lo_u16 v27, v41, 3
	s_delay_alu instid0(VALU_DEP_2) | instskip(SKIP_1) | instid1(VALU_DEP_3)
	v_mul_lo_u16 v28, v26, 6
	v_or_b32_e32 v40, v40, v41
	v_and_b32_e32 v29, 0xff, v27
	s_delay_alu instid0(VALU_DEP_3) | instskip(NEXT) | instid1(VALU_DEP_2)
	v_sub_nc_u16 v27, v24, v28
	v_lshlrev_b32_e32 v32, 3, v29
	s_delay_alu instid0(VALU_DEP_2)
	v_mul_lo_u16 v33, v27, 3
	s_clause 0x1
	global_load_b128 v[28:31], v32, s[22:23]
	global_load_b64 v[36:37], v32, s[22:23] offset:16
	v_and_b32_e32 v40, 0xff, v40
	s_wait_loadcnt_dscnt 0x102
	v_dual_mul_f32 v42, v31, v12 :: v_dual_and_b32 v33, 0xff, v33
	v_mul_f32_e32 v41, v29, v10
	s_delay_alu instid0(VALU_DEP_3) | instskip(NEXT) | instid1(VALU_DEP_3)
	v_dual_mul_f32 v29, v29, v9 :: v_dual_lshlrev_b32 v40, 3, v40
	v_fmac_f32_e32 v42, v30, v11
	s_delay_alu instid0(VALU_DEP_4)
	v_dual_mul_f32 v31, v31, v11 :: v_dual_lshlrev_b32 v38, 3, v33
	s_clause 0x1
	global_load_b128 v[32:35], v38, s[22:23]
	global_load_b64 v[38:39], v38, s[22:23] offset:16
	s_wait_loadcnt_dscnt 0x200
	v_mul_f32_e32 v43, v37, v16
	v_mul_f32_e32 v37, v37, v15
	v_fmac_f32_e32 v41, v28, v9
	v_fma_f32 v9, v28, v10, -v29
	v_fma_f32 v10, v30, v12, -v31
	v_add3_u32 v40, 0, v40, v22
	v_fma_f32 v11, v36, v16, -v37
	global_wb scope:SCOPE_SE
	s_wait_loadcnt 0x0
	s_barrier_signal -1
	s_barrier_wait -1
	global_inv scope:SCOPE_SE
	v_mul_f32_e32 v16, v6, v35
	v_dual_mul_f32 v12, v3, v33 :: v_dual_fmac_f32 v43, v36, v15
	v_dual_mul_f32 v15, v4, v33 :: v_dual_mul_f32 v28, v5, v35
	v_mul_f32_e32 v29, v8, v39
	v_mul_f32_e32 v30, v7, v39
	v_fmac_f32_e32 v16, v5, v34
	v_sub_f32_e32 v5, v13, v42
	v_fmac_f32_e32 v15, v3, v32
	v_fma_f32 v3, v4, v32, -v12
	v_fma_f32 v4, v6, v34, -v28
	v_sub_f32_e32 v6, v14, v10
	v_dual_sub_f32 v10, v9, v11 :: v_dual_fmac_f32 v29, v7, v38
	s_delay_alu instid0(VALU_DEP_3) | instskip(SKIP_1) | instid1(VALU_DEP_3)
	v_dual_sub_f32 v7, v41, v43 :: v_dual_sub_f32 v4, v2, v4
	v_fma_f32 v8, v8, v38, -v30
	v_fma_f32 v12, v9, 2.0, -v10
	v_add_f32_e32 v9, v5, v10
	s_delay_alu instid0(VALU_DEP_4) | instskip(NEXT) | instid1(VALU_DEP_4)
	v_fma_f32 v11, v41, 2.0, -v7
	v_dual_sub_f32 v10, v6, v7 :: v_dual_sub_f32 v7, v3, v8
	v_fma_f32 v2, v2, 2.0, -v4
	v_fma_f32 v28, v13, 2.0, -v5
	;; [unrolled: 1-line block ×3, first 2 shown]
	s_delay_alu instid0(VALU_DEP_4) | instskip(SKIP_4) | instid1(VALU_DEP_4)
	v_fma_f32 v14, v6, 2.0, -v10
	v_fma_f32 v3, v3, 2.0, -v7
	v_dual_sub_f32 v31, v1, v16 :: v_dual_sub_f32 v16, v15, v29
	v_fma_f32 v13, v5, 2.0, -v9
	v_dual_sub_f32 v11, v28, v11 :: v_dual_sub_f32 v12, v30, v12
	v_sub_f32_e32 v6, v2, v3
	s_delay_alu instid0(VALU_DEP_4) | instskip(SKIP_4) | instid1(VALU_DEP_4)
	v_fma_f32 v1, v1, 2.0, -v31
	v_fma_f32 v5, v15, 2.0, -v16
	v_dual_add_f32 v7, v31, v7 :: v_dual_sub_f32 v8, v4, v16
	v_fma_f32 v15, v28, 2.0, -v11
	v_fma_f32 v16, v30, 2.0, -v12
	v_sub_f32_e32 v5, v1, v5
	s_delay_alu instid0(VALU_DEP_4)
	v_fma_f32 v3, v31, 2.0, -v7
	v_fma_f32 v4, v4, 2.0, -v8
	;; [unrolled: 1-line block ×3, first 2 shown]
	ds_store_2addr_b64 v40, v[15:16], v[13:14] offset1:6
	ds_store_2addr_b64 v40, v[11:12], v[9:10] offset0:12 offset1:18
	v_fma_f32 v1, v1, 2.0, -v5
	s_and_saveexec_b32 s2, vcc_lo
	s_cbranch_execz .LBB0_10
; %bb.9:
	v_mul_lo_u16 v9, v26, 24
	s_delay_alu instid0(VALU_DEP_1) | instskip(NEXT) | instid1(VALU_DEP_1)
	v_or_b32_e32 v9, v9, v27
	v_and_b32_e32 v9, 0xff, v9
	s_delay_alu instid0(VALU_DEP_1) | instskip(NEXT) | instid1(VALU_DEP_1)
	v_lshlrev_b32_e32 v9, 3, v9
	v_add3_u32 v9, 0, v9, v22
	ds_store_2addr_b64 v9, v[1:2], v[3:4] offset1:6
	ds_store_2addr_b64 v9, v[5:6], v[7:8] offset0:12 offset1:18
.LBB0_10:
	s_wait_alu 0xfffe
	s_or_b32 exec_lo, exec_lo, s2
	global_wb scope:SCOPE_SE
	s_wait_dscnt 0x0
	s_barrier_signal -1
	s_barrier_wait -1
	global_inv scope:SCOPE_SE
	ds_load_2addr_b64 v[9:12], v17 offset0:48 offset1:96
	ds_load_b64 v[13:14], v21
	ds_load_b64 v[15:16], v17 offset:1152
	s_and_saveexec_b32 s2, vcc_lo
	s_cbranch_execz .LBB0_12
; %bb.11:
	ds_load_2addr_b64 v[1:4], v17 offset0:32 offset1:80
	ds_load_2addr_b64 v[5:8], v17 offset0:128 offset1:176
.LBB0_12:
	s_wait_alu 0xfffe
	s_or_b32 exec_lo, exec_lo, s2
	v_subrev_nc_u32_e32 v26, 24, v23
	v_cmp_gt_u32_e64 s2, 24, v23
	v_mov_b32_e32 v27, 0
	s_mov_b32 s3, 0
	s_wait_alu 0xf1ff
	s_delay_alu instid0(VALU_DEP_2) | instskip(NEXT) | instid1(VALU_DEP_1)
	v_cndmask_b32_e64 v32, v26, v23, s2
	v_mul_i32_i24_e32 v26, 3, v32
	s_delay_alu instid0(VALU_DEP_1) | instskip(NEXT) | instid1(VALU_DEP_1)
	v_lshlrev_b64_e32 v[26:27], 3, v[26:27]
	v_add_co_u32 v30, s2, s22, v26
	s_wait_alu 0xf1ff
	s_delay_alu instid0(VALU_DEP_2)
	v_add_co_ci_u32_e64 v31, s2, s23, v27, s2
	v_cmp_lt_u32_e64 s2, 23, v23
	s_clause 0x1
	global_load_b128 v[26:29], v[30:31], off offset:144
	global_load_b64 v[30:31], v[30:31], off offset:160
	global_wb scope:SCOPE_SE
	s_wait_loadcnt_dscnt 0x0
	s_barrier_signal -1
	s_barrier_wait -1
	global_inv scope:SCOPE_SE
	v_dual_mul_f32 v34, v29, v12 :: v_dual_mul_f32 v33, v27, v10
	v_mul_f32_e32 v27, v27, v9
	v_mul_f32_e32 v29, v29, v11
	;; [unrolled: 1-line block ×4, first 2 shown]
	v_dual_fmac_f32 v34, v28, v11 :: v_dual_fmac_f32 v33, v26, v9
	v_fma_f32 v9, v26, v10, -v27
	v_fma_f32 v10, v28, v12, -v29
	s_delay_alu instid0(VALU_DEP_4) | instskip(SKIP_2) | instid1(VALU_DEP_2)
	v_fma_f32 v11, v30, v16, -v31
	s_wait_alu 0xf1ff
	v_cndmask_b32_e64 v12, 0, 0x60, s2
	v_dual_sub_f32 v16, v14, v10 :: v_dual_sub_f32 v11, v9, v11
	s_delay_alu instid0(VALU_DEP_2) | instskip(NEXT) | instid1(VALU_DEP_2)
	v_or_b32_e32 v12, v12, v32
	v_fma_f32 v26, v14, 2.0, -v16
	s_delay_alu instid0(VALU_DEP_3) | instskip(NEXT) | instid1(VALU_DEP_1)
	v_fma_f32 v14, v9, 2.0, -v11
	v_dual_sub_f32 v12, v26, v14 :: v_dual_lshlrev_b32 v27, 3, v12
	v_fmac_f32_e32 v35, v30, v15
	v_sub_f32_e32 v15, v13, v34
	s_delay_alu instid0(VALU_DEP_3) | instskip(NEXT) | instid1(VALU_DEP_2)
	v_add3_u32 v27, 0, v27, v22
	v_fma_f32 v23, v13, 2.0, -v15
	s_delay_alu instid0(VALU_DEP_4) | instskip(SKIP_1) | instid1(VALU_DEP_2)
	v_sub_f32_e32 v10, v33, v35
	v_add_f32_e32 v9, v15, v11
	v_fma_f32 v13, v33, 2.0, -v10
	s_delay_alu instid0(VALU_DEP_1) | instskip(NEXT) | instid1(VALU_DEP_3)
	v_dual_sub_f32 v11, v23, v13 :: v_dual_sub_f32 v10, v16, v10
	v_fma_f32 v13, v15, 2.0, -v9
	s_delay_alu instid0(VALU_DEP_2) | instskip(NEXT) | instid1(VALU_DEP_3)
	v_fma_f32 v15, v23, 2.0, -v11
	v_fma_f32 v14, v16, 2.0, -v10
	;; [unrolled: 1-line block ×3, first 2 shown]
	ds_store_2addr_b64 v27, v[15:16], v[13:14] offset1:24
	ds_store_2addr_b64 v27, v[11:12], v[9:10] offset0:48 offset1:72
	s_and_saveexec_b32 s2, vcc_lo
	s_cbranch_execz .LBB0_14
; %bb.13:
	v_lshrrev_b16 v9, 10, v25
	s_delay_alu instid0(VALU_DEP_1) | instskip(NEXT) | instid1(VALU_DEP_1)
	v_mul_lo_u16 v9, v9, 24
	v_sub_nc_u16 v9, v24, v9
	s_delay_alu instid0(VALU_DEP_1) | instskip(NEXT) | instid1(VALU_DEP_1)
	v_and_b32_e32 v15, 0xff, v9
	v_mul_u32_u24_e32 v9, 3, v15
	s_delay_alu instid0(VALU_DEP_1)
	v_lshlrev_b32_e32 v13, 3, v9
	s_clause 0x1
	global_load_b128 v[9:12], v13, s[22:23] offset:144
	global_load_b64 v[13:14], v13, s[22:23] offset:160
	s_wait_loadcnt 0x1
	v_mul_f32_e32 v16, v5, v12
	s_wait_loadcnt 0x0
	v_mul_f32_e32 v24, v8, v14
	v_dual_mul_f32 v23, v4, v10 :: v_dual_mul_f32 v12, v6, v12
	v_mul_f32_e32 v14, v7, v14
	v_fma_f32 v6, v6, v11, -v16
	s_delay_alu instid0(VALU_DEP_4) | instskip(NEXT) | instid1(VALU_DEP_4)
	v_fmac_f32_e32 v24, v7, v13
	v_dual_fmac_f32 v23, v3, v9 :: v_dual_fmac_f32 v12, v5, v11
	v_mul_f32_e32 v10, v3, v10
	s_delay_alu instid0(VALU_DEP_4) | instskip(NEXT) | instid1(VALU_DEP_3)
	v_sub_f32_e32 v5, v2, v6
	v_dual_sub_f32 v6, v23, v24 :: v_dual_lshlrev_b32 v11, 3, v15
	s_delay_alu instid0(VALU_DEP_4) | instskip(NEXT) | instid1(VALU_DEP_4)
	v_sub_f32_e32 v7, v1, v12
	v_fma_f32 v3, v4, v9, -v10
	v_fma_f32 v4, v8, v13, -v14
	v_fma_f32 v8, v2, 2.0, -v5
	v_fma_f32 v10, v23, 2.0, -v6
	;; [unrolled: 1-line block ×3, first 2 shown]
	s_delay_alu instid0(VALU_DEP_4) | instskip(NEXT) | instid1(VALU_DEP_1)
	v_sub_f32_e32 v4, v3, v4
	v_dual_sub_f32 v2, v5, v6 :: v_dual_add_f32 v1, v7, v4
	v_fma_f32 v3, v3, 2.0, -v4
	s_delay_alu instid0(VALU_DEP_2) | instskip(NEXT) | instid1(VALU_DEP_3)
	v_fma_f32 v6, v5, 2.0, -v2
	v_fma_f32 v5, v7, 2.0, -v1
	s_delay_alu instid0(VALU_DEP_3) | instskip(SKIP_1) | instid1(VALU_DEP_2)
	v_dual_sub_f32 v4, v8, v3 :: v_dual_sub_f32 v3, v9, v10
	v_add3_u32 v10, 0, v11, v22
	v_fma_f32 v8, v8, 2.0, -v4
	s_delay_alu instid0(VALU_DEP_3)
	v_fma_f32 v7, v9, 2.0, -v3
	ds_store_2addr_b64 v10, v[7:8], v[5:6] offset0:96 offset1:120
	ds_store_2addr_b64 v10, v[3:4], v[1:2] offset0:144 offset1:168
.LBB0_14:
	s_wait_alu 0xfffe
	s_or_b32 exec_lo, exec_lo, s2
	global_wb scope:SCOPE_SE
	s_wait_dscnt 0x0
	s_barrier_signal -1
	s_barrier_wait -1
	global_inv scope:SCOPE_SE
	s_clause 0x2
	global_load_b64 v[5:6], v20, s[22:23] offset:720
	global_load_b64 v[13:14], v20, s[22:23] offset:976
	;; [unrolled: 1-line block ×3, first 2 shown]
	ds_load_2addr_b64 v[1:4], v17 offset0:96 offset1:128
	ds_load_b64 v[20:21], v21
	ds_load_b64 v[22:23], v17 offset:1280
	ds_load_2addr_b64 v[9:12], v17 offset0:32 offset1:64
	v_lshl_add_u32 v18, v18, 3, v19
	v_and_b32_e32 v8, 7, v0
	s_load_b64 s[0:1], s[0:1], 0x60
	s_mov_b32 s9, s3
	s_mul_i32 s2, s28, s6
	s_mul_u64 s[6:7], s[10:11], s[14:15]
	s_mul_u64 s[10:11], s[4:5], s[8:9]
	v_lshrrev_b32_e32 v7, 3, v0
	s_wait_alu 0xfffe
	s_add_nc_u64 s[10:11], s[10:11], s[2:3]
	s_and_not1_b32 vcc_lo, exec_lo, s13
	s_add_nc_u64 s[6:7], s[10:11], s[6:7]
	global_wb scope:SCOPE_SE
	s_wait_loadcnt_dscnt 0x0
	s_wait_kmcnt 0x0
	s_barrier_signal -1
	s_barrier_wait -1
	global_inv scope:SCOPE_SE
	v_mul_f32_e32 v19, v6, v2
	v_dual_mul_f32 v6, v6, v1 :: v_dual_mul_f32 v25, v16, v23
	v_mul_f32_e32 v24, v14, v4
	s_delay_alu instid0(VALU_DEP_3) | instskip(NEXT) | instid1(VALU_DEP_3)
	v_dual_mul_f32 v14, v14, v3 :: v_dual_fmac_f32 v19, v5, v1
	v_fma_f32 v2, v5, v2, -v6
	s_delay_alu instid0(VALU_DEP_3) | instskip(NEXT) | instid1(VALU_DEP_3)
	v_dual_fmac_f32 v25, v15, v22 :: v_dual_fmac_f32 v24, v13, v3
	v_fma_f32 v4, v13, v4, -v14
	s_delay_alu instid0(VALU_DEP_3) | instskip(NEXT) | instid1(VALU_DEP_3)
	v_dual_sub_f32 v1, v20, v19 :: v_dual_sub_f32 v2, v21, v2
	v_dual_sub_f32 v5, v11, v25 :: v_dual_mul_f32 v16, v16, v22
	s_delay_alu instid0(VALU_DEP_4) | instskip(NEXT) | instid1(VALU_DEP_4)
	v_sub_f32_e32 v3, v9, v24
	v_sub_f32_e32 v4, v10, v4
	s_delay_alu instid0(VALU_DEP_4)
	v_fma_f32 v13, v20, 2.0, -v1
	v_fma_f32 v14, v21, 2.0, -v2
	v_fma_f32 v6, v15, v23, -v16
	v_fma_f32 v9, v9, 2.0, -v3
	v_fma_f32 v10, v10, 2.0, -v4
	;; [unrolled: 1-line block ×3, first 2 shown]
	s_delay_alu instid0(VALU_DEP_4) | instskip(NEXT) | instid1(VALU_DEP_1)
	v_sub_f32_e32 v6, v12, v6
	v_fma_f32 v12, v12, 2.0, -v6
	ds_store_2addr_b64 v18, v[3:4], v[5:6] offset0:128 offset1:160
	ds_store_2addr_b64 v17, v[13:14], v[9:10] offset1:32
	ds_store_2addr_b64 v17, v[11:12], v[1:2] offset0:64 offset1:96
	global_wb scope:SCOPE_SE
	s_wait_dscnt 0x0
	s_barrier_signal -1
	s_barrier_wait -1
	global_inv scope:SCOPE_SE
	s_wait_alu 0xfffe
	s_cbranch_vccnz .LBB0_18
; %bb.15:
	v_mad_co_u64_u32 v[2:3], null, s4, v8, 0
	v_mul_lo_u32 v18, v7, s20
	s_lshl_b32 s3, s20, 5
	v_mov_b32_e32 v19, 0
	s_lshl_b64 s[10:11], s[6:7], 3
	s_mov_b32 s2, 0
	s_add_nc_u64 s[10:11], s[0:1], s[10:11]
	s_delay_alu instid0(VALU_DEP_3)
	v_mov_b32_e32 v1, v3
	s_mov_b32 s9, exec_lo
	v_lshlrev_b64_e32 v[14:15], 3, v[18:19]
	s_wait_alu 0xfffe
	v_add_nc_u32_e32 v18, s3, v18
	v_mad_co_u64_u32 v[3:4], null, s5, v8, v[1:2]
	v_mad_u32_u24 v1, 0x608, v8, 0
	s_delay_alu instid0(VALU_DEP_3) | instskip(SKIP_1) | instid1(VALU_DEP_3)
	v_lshlrev_b64_e32 v[16:17], 3, v[18:19]
	v_add_nc_u32_e32 v18, s3, v18
	v_lshl_add_u32 v28, v7, 3, v1
	v_lshlrev_b64_e32 v[20:21], 3, v[2:3]
	s_delay_alu instid0(VALU_DEP_3)
	v_lshlrev_b64_e32 v[22:23], 3, v[18:19]
	ds_load_2addr_b64 v[3:6], v28 offset1:32
	ds_load_2addr_b64 v[10:13], v28 offset0:64 offset1:96
	v_add_nc_u32_e32 v18, s3, v18
	v_add_co_u32 v2, vcc_lo, s10, v20
	s_wait_alu 0xfffd
	v_add_co_ci_u32_e32 v9, vcc_lo, s11, v21, vcc_lo
	s_delay_alu instid0(VALU_DEP_3) | instskip(NEXT) | instid1(VALU_DEP_3)
	v_lshlrev_b64_e32 v[20:21], 3, v[18:19]
	v_add_co_u32 v24, vcc_lo, v2, v14
	s_wait_alu 0xfffd
	s_delay_alu instid0(VALU_DEP_3)
	v_add_co_ci_u32_e32 v25, vcc_lo, v9, v15, vcc_lo
	v_add_co_u32 v26, vcc_lo, v2, v16
	s_wait_alu 0xfffd
	v_add_co_ci_u32_e32 v27, vcc_lo, v9, v17, vcc_lo
	v_add_co_u32 v22, vcc_lo, v2, v22
	v_add_nc_u32_e32 v18, s3, v18
	s_wait_alu 0xfffd
	v_add_co_ci_u32_e32 v23, vcc_lo, v9, v23, vcc_lo
	ds_load_2addr_b64 v[14:17], v28 offset0:128 offset1:160
	s_wait_dscnt 0x2
	s_clause 0x1
	global_store_b64 v[24:25], v[3:4], off
	global_store_b64 v[26:27], v[5:6], off
	s_wait_dscnt 0x1
	global_store_b64 v[22:23], v[10:11], off
	v_lshlrev_b64_e32 v[3:4], 3, v[18:19]
	v_add_nc_u32_e32 v18, s3, v18
	v_add_co_u32 v5, vcc_lo, v2, v20
	s_wait_alu 0xfffd
	v_add_co_ci_u32_e32 v6, vcc_lo, v9, v21, vcc_lo
	s_delay_alu instid0(VALU_DEP_3) | instskip(SKIP_4) | instid1(VALU_DEP_3)
	v_lshlrev_b64_e32 v[10:11], 3, v[18:19]
	v_add_co_u32 v3, vcc_lo, v2, v3
	s_wait_alu 0xfffd
	v_add_co_ci_u32_e32 v4, vcc_lo, v9, v4, vcc_lo
	s_mov_b32 s3, 0
	v_add_co_u32 v10, vcc_lo, v2, v10
	s_wait_alu 0xfffd
	v_add_co_ci_u32_e32 v11, vcc_lo, v9, v11, vcc_lo
	global_store_b64 v[5:6], v[12:13], off
	s_wait_dscnt 0x0
	s_clause 0x1
	global_store_b64 v[3:4], v[14:15], off
	; meta instruction
	; meta instruction
	global_store_b64 v[10:11], v[16:17], off
	v_cmpx_gt_u32_e32 8, v0
	s_cbranch_execz .LBB0_17
; %bb.16:
	ds_load_b64 v[3:4], v1 offset:1536
	s_mul_i32 s10, s20, 0xc0
	s_mov_b32 s11, 0
	s_mov_b32 s3, exec_lo
	s_wait_alu 0xfffe
	s_lshl_b64 s[10:11], s[10:11], 3
	s_wait_alu 0xfffe
	v_add_co_u32 v5, vcc_lo, v2, s10
	s_wait_alu 0xfffd
	v_add_co_ci_u32_e32 v6, vcc_lo, s11, v9, vcc_lo
	s_wait_dscnt 0x0
	global_store_b32 v[5:6], v3, off
.LBB0_17:
	s_or_b32 exec_lo, exec_lo, s9
	s_delay_alu instid0(SALU_CYCLE_1)
	s_and_b32 vcc_lo, exec_lo, s2
	s_wait_alu 0xfffe
	s_cbranch_vccnz .LBB0_19
	s_branch .LBB0_24
.LBB0_18:
                                        ; implicit-def: $vgpr4
                                        ; implicit-def: $vgpr5_vgpr6
	s_cbranch_execz .LBB0_24
.LBB0_19:
	v_or_b32_e32 v1, s8, v8
	s_mov_b32 s2, exec_lo
                                        ; implicit-def: $vgpr4
                                        ; implicit-def: $vgpr5_vgpr6
	s_delay_alu instid0(VALU_DEP_1)
	v_cmpx_gt_u32_e64 s12, v1
	s_cbranch_execz .LBB0_23
; %bb.20:
	v_mad_co_u64_u32 v[4:5], null, s4, v8, 0
	v_mul_lo_u32 v1, v7, s20
	s_lshl_b32 s4, s20, 5
	s_lshl_b64 s[6:7], s[6:7], 3
	v_mov_b32_e32 v2, 0
	s_wait_alu 0xfffe
	s_add_nc_u64 s[0:1], s[0:1], s[6:7]
	s_delay_alu instid0(VALU_DEP_3) | instskip(NEXT) | instid1(VALU_DEP_2)
	v_mov_b32_e32 v3, v5
	v_lshlrev_b64_e32 v[17:18], 3, v[1:2]
	v_add_nc_u32_e32 v1, s4, v1
	s_delay_alu instid0(VALU_DEP_3) | instskip(SKIP_1) | instid1(VALU_DEP_3)
	v_mad_co_u64_u32 v[5:6], null, s5, v8, v[3:4]
	v_mad_u32_u24 v3, 0x608, v8, 0
	v_lshlrev_b64_e32 v[19:20], 3, v[1:2]
	v_add_nc_u32_e32 v1, s4, v1
	s_delay_alu instid0(VALU_DEP_3)
	v_lshl_add_u32 v6, v7, 3, v3
	v_lshlrev_b64_e32 v[4:5], 3, v[4:5]
	ds_load_2addr_b64 v[9:12], v6 offset1:32
	ds_load_2addr_b64 v[13:16], v6 offset0:64 offset1:96
	v_lshlrev_b64_e32 v[21:22], 3, v[1:2]
	v_add_co_u32 v7, vcc_lo, s0, v4
	s_wait_alu 0xfffd
	v_add_co_ci_u32_e32 v8, vcc_lo, s1, v5, vcc_lo
	v_add_nc_u32_e32 v1, s4, v1
	s_delay_alu instid0(VALU_DEP_3) | instskip(SKIP_1) | instid1(VALU_DEP_3)
	v_add_co_u32 v23, vcc_lo, v7, v17
	s_wait_alu 0xfffd
	v_add_co_ci_u32_e32 v24, vcc_lo, v8, v18, vcc_lo
	v_add_co_u32 v25, vcc_lo, v7, v19
	s_wait_alu 0xfffd
	v_add_co_ci_u32_e32 v26, vcc_lo, v8, v20, vcc_lo
	v_lshlrev_b64_e32 v[4:5], 3, v[1:2]
	v_add_co_u32 v21, vcc_lo, v7, v21
	v_add_nc_u32_e32 v1, s4, v1
	s_wait_alu 0xfffd
	v_add_co_ci_u32_e32 v22, vcc_lo, v8, v22, vcc_lo
	ds_load_2addr_b64 v[17:20], v6 offset0:128 offset1:160
	s_wait_dscnt 0x2
	s_clause 0x1
	global_store_b64 v[23:24], v[9:10], off
	global_store_b64 v[25:26], v[11:12], off
	s_wait_dscnt 0x1
	global_store_b64 v[21:22], v[13:14], off
	v_lshlrev_b64_e32 v[9:10], 3, v[1:2]
	v_add_nc_u32_e32 v1, s4, v1
	v_add_co_u32 v4, vcc_lo, v7, v4
	s_wait_alu 0xfffd
	v_add_co_ci_u32_e32 v5, vcc_lo, v8, v5, vcc_lo
	s_delay_alu instid0(VALU_DEP_3) | instskip(SKIP_4) | instid1(VALU_DEP_3)
	v_lshlrev_b64_e32 v[11:12], 3, v[1:2]
	v_add_co_u32 v9, vcc_lo, v7, v9
	s_wait_alu 0xfffd
	v_add_co_ci_u32_e32 v10, vcc_lo, v8, v10, vcc_lo
	s_and_b32 s0, s12, 7
	v_add_co_u32 v11, vcc_lo, v7, v11
	s_wait_alu 0xfffd
	v_add_co_ci_u32_e32 v12, vcc_lo, v8, v12, vcc_lo
	s_wait_alu 0xfffe
	v_cmp_gt_u32_e32 vcc_lo, s0, v0
	s_mov_b32 s1, s3
	global_store_b64 v[4:5], v[15:16], off
	s_wait_dscnt 0x0
	s_clause 0x1
	global_store_b64 v[9:10], v[17:18], off
	global_store_b64 v[11:12], v[19:20], off
                                        ; implicit-def: $vgpr4
                                        ; implicit-def: $vgpr5_vgpr6
	s_and_saveexec_b32 s0, vcc_lo
	s_cbranch_execz .LBB0_22
; %bb.21:
	ds_load_b64 v[3:4], v3 offset:1536
	v_add_nc_u32_e32 v1, s4, v1
	s_or_b32 s1, s3, exec_lo
	s_delay_alu instid0(VALU_DEP_1) | instskip(NEXT) | instid1(VALU_DEP_1)
	v_lshlrev_b64_e32 v[0:1], 3, v[1:2]
	v_add_co_u32 v5, vcc_lo, v7, v0
	s_wait_alu 0xfffd
	s_delay_alu instid0(VALU_DEP_2)
	v_add_co_ci_u32_e32 v6, vcc_lo, v8, v1, vcc_lo
	s_wait_dscnt 0x0
	global_store_b32 v[5:6], v3, off
.LBB0_22:
	s_wait_alu 0xfffe
	s_or_b32 exec_lo, exec_lo, s0
	s_delay_alu instid0(SALU_CYCLE_1)
	s_and_not1_b32 s0, s3, exec_lo
	s_and_b32 s1, s1, exec_lo
	s_wait_alu 0xfffe
	s_or_b32 s3, s0, s1
.LBB0_23:
	s_wait_alu 0xfffe
	s_or_b32 exec_lo, exec_lo, s2
.LBB0_24:
	s_and_saveexec_b32 s0, s3
	s_cbranch_execnz .LBB0_26
; %bb.25:
	s_nop 0
	s_sendmsg sendmsg(MSG_DEALLOC_VGPRS)
	s_endpgm
.LBB0_26:
	global_store_b32 v[5:6], v4, off offset:4
	s_nop 0
	s_sendmsg sendmsg(MSG_DEALLOC_VGPRS)
	s_endpgm
	.section	.rodata,"a",@progbits
	.p2align	6, 0x0
	.amdhsa_kernel fft_rtc_back_len192_factors_6_4_4_2_wgs_256_tpt_32_sp_op_CI_CI_sbrc_erc_z_xy_unaligned_dirReg
		.amdhsa_group_segment_fixed_size 0
		.amdhsa_private_segment_fixed_size 0
		.amdhsa_kernarg_size 104
		.amdhsa_user_sgpr_count 2
		.amdhsa_user_sgpr_dispatch_ptr 0
		.amdhsa_user_sgpr_queue_ptr 0
		.amdhsa_user_sgpr_kernarg_segment_ptr 1
		.amdhsa_user_sgpr_dispatch_id 0
		.amdhsa_user_sgpr_private_segment_size 0
		.amdhsa_wavefront_size32 1
		.amdhsa_uses_dynamic_stack 0
		.amdhsa_enable_private_segment 0
		.amdhsa_system_sgpr_workgroup_id_x 1
		.amdhsa_system_sgpr_workgroup_id_y 0
		.amdhsa_system_sgpr_workgroup_id_z 0
		.amdhsa_system_sgpr_workgroup_info 0
		.amdhsa_system_vgpr_workitem_id 0
		.amdhsa_next_free_vgpr 44
		.amdhsa_next_free_sgpr 29
		.amdhsa_reserve_vcc 1
		.amdhsa_float_round_mode_32 0
		.amdhsa_float_round_mode_16_64 0
		.amdhsa_float_denorm_mode_32 3
		.amdhsa_float_denorm_mode_16_64 3
		.amdhsa_fp16_overflow 0
		.amdhsa_workgroup_processor_mode 1
		.amdhsa_memory_ordered 1
		.amdhsa_forward_progress 0
		.amdhsa_round_robin_scheduling 0
		.amdhsa_exception_fp_ieee_invalid_op 0
		.amdhsa_exception_fp_denorm_src 0
		.amdhsa_exception_fp_ieee_div_zero 0
		.amdhsa_exception_fp_ieee_overflow 0
		.amdhsa_exception_fp_ieee_underflow 0
		.amdhsa_exception_fp_ieee_inexact 0
		.amdhsa_exception_int_div_zero 0
	.end_amdhsa_kernel
	.text
.Lfunc_end0:
	.size	fft_rtc_back_len192_factors_6_4_4_2_wgs_256_tpt_32_sp_op_CI_CI_sbrc_erc_z_xy_unaligned_dirReg, .Lfunc_end0-fft_rtc_back_len192_factors_6_4_4_2_wgs_256_tpt_32_sp_op_CI_CI_sbrc_erc_z_xy_unaligned_dirReg
                                        ; -- End function
	.section	.AMDGPU.csdata,"",@progbits
; Kernel info:
; codeLenInByte = 5324
; NumSgprs: 31
; NumVgprs: 44
; ScratchSize: 0
; MemoryBound: 0
; FloatMode: 240
; IeeeMode: 1
; LDSByteSize: 0 bytes/workgroup (compile time only)
; SGPRBlocks: 3
; VGPRBlocks: 5
; NumSGPRsForWavesPerEU: 31
; NumVGPRsForWavesPerEU: 44
; Occupancy: 16
; WaveLimiterHint : 1
; COMPUTE_PGM_RSRC2:SCRATCH_EN: 0
; COMPUTE_PGM_RSRC2:USER_SGPR: 2
; COMPUTE_PGM_RSRC2:TRAP_HANDLER: 0
; COMPUTE_PGM_RSRC2:TGID_X_EN: 1
; COMPUTE_PGM_RSRC2:TGID_Y_EN: 0
; COMPUTE_PGM_RSRC2:TGID_Z_EN: 0
; COMPUTE_PGM_RSRC2:TIDIG_COMP_CNT: 0
	.text
	.p2alignl 7, 3214868480
	.fill 96, 4, 3214868480
	.type	__hip_cuid_9ad0812d45af0f5c,@object ; @__hip_cuid_9ad0812d45af0f5c
	.section	.bss,"aw",@nobits
	.globl	__hip_cuid_9ad0812d45af0f5c
__hip_cuid_9ad0812d45af0f5c:
	.byte	0                               ; 0x0
	.size	__hip_cuid_9ad0812d45af0f5c, 1

	.ident	"AMD clang version 19.0.0git (https://github.com/RadeonOpenCompute/llvm-project roc-6.4.0 25133 c7fe45cf4b819c5991fe208aaa96edf142730f1d)"
	.section	".note.GNU-stack","",@progbits
	.addrsig
	.addrsig_sym __hip_cuid_9ad0812d45af0f5c
	.amdgpu_metadata
---
amdhsa.kernels:
  - .args:
      - .actual_access:  read_only
        .address_space:  global
        .offset:         0
        .size:           8
        .value_kind:     global_buffer
      - .offset:         8
        .size:           8
        .value_kind:     by_value
      - .actual_access:  read_only
        .address_space:  global
        .offset:         16
        .size:           8
        .value_kind:     global_buffer
      - .actual_access:  read_only
        .address_space:  global
        .offset:         24
        .size:           8
        .value_kind:     global_buffer
      - .actual_access:  read_only
        .address_space:  global
        .offset:         32
        .size:           8
        .value_kind:     global_buffer
      - .offset:         40
        .size:           8
        .value_kind:     by_value
      - .actual_access:  read_only
        .address_space:  global
        .offset:         48
        .size:           8
        .value_kind:     global_buffer
      - .actual_access:  read_only
        .address_space:  global
        .offset:         56
        .size:           8
        .value_kind:     global_buffer
      - .offset:         64
        .size:           4
        .value_kind:     by_value
      - .actual_access:  read_only
        .address_space:  global
        .offset:         72
        .size:           8
        .value_kind:     global_buffer
      - .actual_access:  read_only
        .address_space:  global
        .offset:         80
        .size:           8
        .value_kind:     global_buffer
      - .actual_access:  read_only
        .address_space:  global
        .offset:         88
        .size:           8
        .value_kind:     global_buffer
      - .actual_access:  write_only
        .address_space:  global
        .offset:         96
        .size:           8
        .value_kind:     global_buffer
    .group_segment_fixed_size: 0
    .kernarg_segment_align: 8
    .kernarg_segment_size: 104
    .language:       OpenCL C
    .language_version:
      - 2
      - 0
    .max_flat_workgroup_size: 256
    .name:           fft_rtc_back_len192_factors_6_4_4_2_wgs_256_tpt_32_sp_op_CI_CI_sbrc_erc_z_xy_unaligned_dirReg
    .private_segment_fixed_size: 0
    .sgpr_count:     31
    .sgpr_spill_count: 0
    .symbol:         fft_rtc_back_len192_factors_6_4_4_2_wgs_256_tpt_32_sp_op_CI_CI_sbrc_erc_z_xy_unaligned_dirReg.kd
    .uniform_work_group_size: 1
    .uses_dynamic_stack: false
    .vgpr_count:     44
    .vgpr_spill_count: 0
    .wavefront_size: 32
    .workgroup_processor_mode: 1
amdhsa.target:   amdgcn-amd-amdhsa--gfx1201
amdhsa.version:
  - 1
  - 2
...

	.end_amdgpu_metadata
